;; amdgpu-corpus repo=ROCm/rocFFT kind=compiled arch=gfx906 opt=O3
	.text
	.amdgcn_target "amdgcn-amd-amdhsa--gfx906"
	.amdhsa_code_object_version 6
	.protected	fft_rtc_fwd_len756_factors_2_2_3_3_3_7_wgs_63_tpt_63_sp_ip_CI_unitstride_sbrr_R2C_dirReg ; -- Begin function fft_rtc_fwd_len756_factors_2_2_3_3_3_7_wgs_63_tpt_63_sp_ip_CI_unitstride_sbrr_R2C_dirReg
	.globl	fft_rtc_fwd_len756_factors_2_2_3_3_3_7_wgs_63_tpt_63_sp_ip_CI_unitstride_sbrr_R2C_dirReg
	.p2align	8
	.type	fft_rtc_fwd_len756_factors_2_2_3_3_3_7_wgs_63_tpt_63_sp_ip_CI_unitstride_sbrr_R2C_dirReg,@function
fft_rtc_fwd_len756_factors_2_2_3_3_3_7_wgs_63_tpt_63_sp_ip_CI_unitstride_sbrr_R2C_dirReg: ; @fft_rtc_fwd_len756_factors_2_2_3_3_3_7_wgs_63_tpt_63_sp_ip_CI_unitstride_sbrr_R2C_dirReg
; %bb.0:
	s_load_dwordx2 s[2:3], s[4:5], 0x50
	s_load_dwordx4 s[8:11], s[4:5], 0x0
	s_load_dwordx2 s[12:13], s[4:5], 0x18
	v_mul_u32_u24_e32 v1, 0x411, v0
	v_add_u32_sdwa v5, s6, v1 dst_sel:DWORD dst_unused:UNUSED_PAD src0_sel:DWORD src1_sel:WORD_1
	v_mov_b32_e32 v3, 0
	s_waitcnt lgkmcnt(0)
	v_cmp_lt_u64_e64 s[0:1], s[10:11], 2
	v_mov_b32_e32 v1, 0
	v_mov_b32_e32 v6, v3
	s_and_b64 vcc, exec, s[0:1]
	v_mov_b32_e32 v2, 0
	s_cbranch_vccnz .LBB0_8
; %bb.1:
	s_load_dwordx2 s[0:1], s[4:5], 0x10
	s_add_u32 s6, s12, 8
	s_addc_u32 s7, s13, 0
	v_mov_b32_e32 v1, 0
	v_mov_b32_e32 v2, 0
	s_waitcnt lgkmcnt(0)
	s_add_u32 s14, s0, 8
	s_addc_u32 s15, s1, 0
	s_mov_b64 s[16:17], 1
.LBB0_2:                                ; =>This Inner Loop Header: Depth=1
	s_load_dwordx2 s[18:19], s[14:15], 0x0
                                        ; implicit-def: $vgpr7_vgpr8
	s_waitcnt lgkmcnt(0)
	v_or_b32_e32 v4, s19, v6
	v_cmp_ne_u64_e32 vcc, 0, v[3:4]
	s_and_saveexec_b64 s[0:1], vcc
	s_xor_b64 s[20:21], exec, s[0:1]
	s_cbranch_execz .LBB0_4
; %bb.3:                                ;   in Loop: Header=BB0_2 Depth=1
	v_cvt_f32_u32_e32 v4, s18
	v_cvt_f32_u32_e32 v7, s19
	s_sub_u32 s0, 0, s18
	s_subb_u32 s1, 0, s19
	v_mac_f32_e32 v4, 0x4f800000, v7
	v_rcp_f32_e32 v4, v4
	v_mul_f32_e32 v4, 0x5f7ffffc, v4
	v_mul_f32_e32 v7, 0x2f800000, v4
	v_trunc_f32_e32 v7, v7
	v_mac_f32_e32 v4, 0xcf800000, v7
	v_cvt_u32_f32_e32 v7, v7
	v_cvt_u32_f32_e32 v4, v4
	v_mul_lo_u32 v8, s0, v7
	v_mul_hi_u32 v9, s0, v4
	v_mul_lo_u32 v11, s1, v4
	v_mul_lo_u32 v10, s0, v4
	v_add_u32_e32 v8, v9, v8
	v_add_u32_e32 v8, v8, v11
	v_mul_hi_u32 v9, v4, v10
	v_mul_lo_u32 v11, v4, v8
	v_mul_hi_u32 v13, v4, v8
	v_mul_hi_u32 v12, v7, v10
	v_mul_lo_u32 v10, v7, v10
	v_mul_hi_u32 v14, v7, v8
	v_add_co_u32_e32 v9, vcc, v9, v11
	v_addc_co_u32_e32 v11, vcc, 0, v13, vcc
	v_mul_lo_u32 v8, v7, v8
	v_add_co_u32_e32 v9, vcc, v9, v10
	v_addc_co_u32_e32 v9, vcc, v11, v12, vcc
	v_addc_co_u32_e32 v10, vcc, 0, v14, vcc
	v_add_co_u32_e32 v8, vcc, v9, v8
	v_addc_co_u32_e32 v9, vcc, 0, v10, vcc
	v_add_co_u32_e32 v4, vcc, v4, v8
	v_addc_co_u32_e32 v7, vcc, v7, v9, vcc
	v_mul_lo_u32 v8, s0, v7
	v_mul_hi_u32 v9, s0, v4
	v_mul_lo_u32 v10, s1, v4
	v_mul_lo_u32 v11, s0, v4
	v_add_u32_e32 v8, v9, v8
	v_add_u32_e32 v8, v8, v10
	v_mul_lo_u32 v12, v4, v8
	v_mul_hi_u32 v13, v4, v11
	v_mul_hi_u32 v14, v4, v8
	;; [unrolled: 1-line block ×3, first 2 shown]
	v_mul_lo_u32 v11, v7, v11
	v_mul_hi_u32 v9, v7, v8
	v_add_co_u32_e32 v12, vcc, v13, v12
	v_addc_co_u32_e32 v13, vcc, 0, v14, vcc
	v_mul_lo_u32 v8, v7, v8
	v_add_co_u32_e32 v11, vcc, v12, v11
	v_addc_co_u32_e32 v10, vcc, v13, v10, vcc
	v_addc_co_u32_e32 v9, vcc, 0, v9, vcc
	v_add_co_u32_e32 v8, vcc, v10, v8
	v_addc_co_u32_e32 v9, vcc, 0, v9, vcc
	v_add_co_u32_e32 v4, vcc, v4, v8
	v_addc_co_u32_e32 v9, vcc, v7, v9, vcc
	v_mad_u64_u32 v[7:8], s[0:1], v5, v9, 0
	v_mul_hi_u32 v10, v5, v4
	v_add_co_u32_e32 v11, vcc, v10, v7
	v_addc_co_u32_e32 v12, vcc, 0, v8, vcc
	v_mad_u64_u32 v[7:8], s[0:1], v6, v4, 0
	v_mad_u64_u32 v[9:10], s[0:1], v6, v9, 0
	v_add_co_u32_e32 v4, vcc, v11, v7
	v_addc_co_u32_e32 v4, vcc, v12, v8, vcc
	v_addc_co_u32_e32 v7, vcc, 0, v10, vcc
	v_add_co_u32_e32 v4, vcc, v4, v9
	v_addc_co_u32_e32 v9, vcc, 0, v7, vcc
	v_mul_lo_u32 v10, s19, v4
	v_mul_lo_u32 v11, s18, v9
	v_mad_u64_u32 v[7:8], s[0:1], s18, v4, 0
	v_add3_u32 v8, v8, v11, v10
	v_sub_u32_e32 v10, v6, v8
	v_mov_b32_e32 v11, s19
	v_sub_co_u32_e32 v7, vcc, v5, v7
	v_subb_co_u32_e64 v10, s[0:1], v10, v11, vcc
	v_subrev_co_u32_e64 v11, s[0:1], s18, v7
	v_subbrev_co_u32_e64 v10, s[0:1], 0, v10, s[0:1]
	v_cmp_le_u32_e64 s[0:1], s19, v10
	v_cndmask_b32_e64 v12, 0, -1, s[0:1]
	v_cmp_le_u32_e64 s[0:1], s18, v11
	v_cndmask_b32_e64 v11, 0, -1, s[0:1]
	v_cmp_eq_u32_e64 s[0:1], s19, v10
	v_cndmask_b32_e64 v10, v12, v11, s[0:1]
	v_add_co_u32_e64 v11, s[0:1], 2, v4
	v_addc_co_u32_e64 v12, s[0:1], 0, v9, s[0:1]
	v_add_co_u32_e64 v13, s[0:1], 1, v4
	v_addc_co_u32_e64 v14, s[0:1], 0, v9, s[0:1]
	v_subb_co_u32_e32 v8, vcc, v6, v8, vcc
	v_cmp_ne_u32_e64 s[0:1], 0, v10
	v_cmp_le_u32_e32 vcc, s19, v8
	v_cndmask_b32_e64 v10, v14, v12, s[0:1]
	v_cndmask_b32_e64 v12, 0, -1, vcc
	v_cmp_le_u32_e32 vcc, s18, v7
	v_cndmask_b32_e64 v7, 0, -1, vcc
	v_cmp_eq_u32_e32 vcc, s19, v8
	v_cndmask_b32_e32 v7, v12, v7, vcc
	v_cmp_ne_u32_e32 vcc, 0, v7
	v_cndmask_b32_e64 v7, v13, v11, s[0:1]
	v_cndmask_b32_e32 v8, v9, v10, vcc
	v_cndmask_b32_e32 v7, v4, v7, vcc
.LBB0_4:                                ;   in Loop: Header=BB0_2 Depth=1
	s_andn2_saveexec_b64 s[0:1], s[20:21]
	s_cbranch_execz .LBB0_6
; %bb.5:                                ;   in Loop: Header=BB0_2 Depth=1
	v_cvt_f32_u32_e32 v4, s18
	s_sub_i32 s20, 0, s18
	v_rcp_iflag_f32_e32 v4, v4
	v_mul_f32_e32 v4, 0x4f7ffffe, v4
	v_cvt_u32_f32_e32 v4, v4
	v_mul_lo_u32 v7, s20, v4
	v_mul_hi_u32 v7, v4, v7
	v_add_u32_e32 v4, v4, v7
	v_mul_hi_u32 v4, v5, v4
	v_mul_lo_u32 v7, v4, s18
	v_add_u32_e32 v8, 1, v4
	v_sub_u32_e32 v7, v5, v7
	v_subrev_u32_e32 v9, s18, v7
	v_cmp_le_u32_e32 vcc, s18, v7
	v_cndmask_b32_e32 v7, v7, v9, vcc
	v_cndmask_b32_e32 v4, v4, v8, vcc
	v_add_u32_e32 v8, 1, v4
	v_cmp_le_u32_e32 vcc, s18, v7
	v_cndmask_b32_e32 v7, v4, v8, vcc
	v_mov_b32_e32 v8, v3
.LBB0_6:                                ;   in Loop: Header=BB0_2 Depth=1
	s_or_b64 exec, exec, s[0:1]
	v_mul_lo_u32 v4, v8, s18
	v_mul_lo_u32 v11, v7, s19
	v_mad_u64_u32 v[9:10], s[0:1], v7, s18, 0
	s_load_dwordx2 s[0:1], s[6:7], 0x0
	s_add_u32 s16, s16, 1
	v_add3_u32 v4, v10, v11, v4
	v_sub_co_u32_e32 v5, vcc, v5, v9
	v_subb_co_u32_e32 v4, vcc, v6, v4, vcc
	s_waitcnt lgkmcnt(0)
	v_mul_lo_u32 v4, s0, v4
	v_mul_lo_u32 v6, s1, v5
	v_mad_u64_u32 v[1:2], s[0:1], s0, v5, v[1:2]
	s_addc_u32 s17, s17, 0
	s_add_u32 s6, s6, 8
	v_add3_u32 v2, v6, v2, v4
	v_mov_b32_e32 v4, s10
	v_mov_b32_e32 v5, s11
	s_addc_u32 s7, s7, 0
	v_cmp_ge_u64_e32 vcc, s[16:17], v[4:5]
	s_add_u32 s14, s14, 8
	s_addc_u32 s15, s15, 0
	s_cbranch_vccnz .LBB0_9
; %bb.7:                                ;   in Loop: Header=BB0_2 Depth=1
	v_mov_b32_e32 v5, v7
	v_mov_b32_e32 v6, v8
	s_branch .LBB0_2
.LBB0_8:
	v_mov_b32_e32 v8, v6
	v_mov_b32_e32 v7, v5
.LBB0_9:
	s_lshl_b64 s[0:1], s[10:11], 3
	s_add_u32 s0, s12, s0
	s_addc_u32 s1, s13, s1
	s_load_dwordx2 s[6:7], s[0:1], 0x0
	s_load_dwordx2 s[10:11], s[4:5], 0x20
                                        ; implicit-def: $vgpr30
                                        ; implicit-def: $vgpr29
                                        ; implicit-def: $vgpr26
                                        ; implicit-def: $vgpr28
	s_waitcnt lgkmcnt(0)
	v_mad_u64_u32 v[1:2], s[0:1], s6, v7, v[1:2]
	s_mov_b32 s0, 0x4104105
	v_mul_lo_u32 v3, s6, v8
	v_mul_lo_u32 v4, s7, v7
	v_mul_hi_u32 v5, v0, s0
	v_cmp_gt_u64_e64 s[0:1], s[10:11], v[7:8]
	v_cmp_le_u64_e32 vcc, s[10:11], v[7:8]
	v_add3_u32 v2, v4, v2, v3
	v_mul_u32_u24_e32 v3, 63, v5
	v_sub_u32_e32 v20, v0, v3
	v_add_u32_e32 v22, 63, v20
	s_and_saveexec_b64 s[4:5], vcc
	s_xor_b64 s[4:5], exec, s[4:5]
; %bb.10:
	v_add_u32_e32 v22, 63, v20
	v_add_u32_e32 v30, 0x7e, v20
	;; [unrolled: 1-line block ×5, first 2 shown]
; %bb.11:
	s_or_saveexec_b64 s[4:5], s[4:5]
	v_lshlrev_b64 v[24:25], 3, v[1:2]
	s_xor_b64 exec, exec, s[4:5]
	s_cbranch_execz .LBB0_13
; %bb.12:
	v_mov_b32_e32 v21, 0
	v_mov_b32_e32 v0, s3
	v_add_co_u32_e32 v2, vcc, s2, v24
	v_addc_co_u32_e32 v3, vcc, v0, v25, vcc
	v_lshlrev_b64 v[0:1], 3, v[20:21]
	v_add_u32_e32 v30, 0x7e, v20
	v_add_co_u32_e32 v0, vcc, v2, v0
	v_addc_co_u32_e32 v1, vcc, v3, v1, vcc
	v_add_co_u32_e32 v18, vcc, 0x1000, v0
	global_load_dwordx2 v[2:3], v[0:1], off
	global_load_dwordx2 v[4:5], v[0:1], off offset:504
	global_load_dwordx2 v[6:7], v[0:1], off offset:1008
	global_load_dwordx2 v[8:9], v[0:1], off offset:1512
	global_load_dwordx2 v[10:11], v[0:1], off offset:2016
	global_load_dwordx2 v[12:13], v[0:1], off offset:2520
	global_load_dwordx2 v[14:15], v[0:1], off offset:3024
	global_load_dwordx2 v[16:17], v[0:1], off offset:3528
	v_addc_co_u32_e32 v19, vcc, 0, v1, vcc
	global_load_dwordx2 v[31:32], v[0:1], off offset:4032
	global_load_dwordx2 v[33:34], v[18:19], off offset:440
	;; [unrolled: 1-line block ×4, first 2 shown]
	v_lshl_add_u32 v0, v20, 3, 0
	v_add_u32_e32 v29, 0xbd, v20
	v_add_u32_e32 v26, 0xfc, v20
	;; [unrolled: 1-line block ×7, first 2 shown]
	s_waitcnt vmcnt(10)
	ds_write2_b64 v0, v[2:3], v[4:5] offset1:63
	s_waitcnt vmcnt(8)
	ds_write2_b64 v0, v[6:7], v[8:9] offset0:126 offset1:189
	s_waitcnt vmcnt(6)
	ds_write2_b64 v1, v[10:11], v[12:13] offset0:124 offset1:187
	;; [unrolled: 2-line block ×5, first 2 shown]
.LBB0_13:
	s_or_b64 exec, exec, s[4:5]
	v_lshlrev_b32_e32 v21, 3, v20
	v_add_u32_e32 v39, 0, v21
	v_add_u32_e32 v4, 0x800, v39
	s_waitcnt lgkmcnt(0)
	; wave barrier
	s_waitcnt lgkmcnt(0)
	ds_read2_b64 v[0:3], v39 offset1:63
	ds_read2_b64 v[5:8], v4 offset0:122 offset1:185
	v_add_u32_e32 v46, 0xc00, v39
	v_add_u32_e32 v47, 0x400, v39
	v_lshl_add_u32 v27, v30, 4, 0
	v_lshl_add_u32 v42, v29, 4, 0
	s_waitcnt lgkmcnt(0)
	v_sub_f32_e32 v17, v0, v5
	v_add_u32_e32 v5, 0x1000, v39
	ds_read2_b64 v[9:12], v39 offset0:126 offset1:189
	ds_read2_b64 v[13:16], v46 offset0:120 offset1:183
	;; [unrolled: 1-line block ×4, first 2 shown]
	v_sub_f32_e32 v18, v1, v6
	v_fma_f32 v0, v0, 2.0, -v17
	v_fma_f32 v1, v1, 2.0, -v18
	v_add_u32_e32 v6, v39, v21
	s_waitcnt lgkmcnt(0)
	; wave barrier
	s_waitcnt lgkmcnt(0)
	ds_write2_b64 v6, v[0:1], v[17:18] offset1:1
	v_sub_f32_e32 v0, v2, v7
	v_sub_f32_e32 v1, v3, v8
	v_fma_f32 v2, v2, 2.0, -v0
	v_fma_f32 v3, v3, 2.0, -v1
	v_sub_f32_e32 v7, v9, v13
	v_sub_f32_e32 v8, v10, v14
	;; [unrolled: 1-line block ×8, first 2 shown]
	v_lshl_add_u32 v6, v22, 4, 0
	v_and_b32_e32 v35, 1, v22
	v_fma_f32 v9, v9, 2.0, -v7
	v_fma_f32 v10, v10, 2.0, -v8
	;; [unrolled: 1-line block ×8, first 2 shown]
	ds_write2_b64 v6, v[2:3], v[0:1] offset1:1
	v_lshl_add_u32 v41, v26, 4, 0
	v_lshl_add_u32 v40, v28, 4, 0
	v_lshlrev_b32_e32 v0, 3, v35
	v_and_b32_e32 v36, 1, v20
	v_and_b32_e32 v37, 1, v29
	;; [unrolled: 1-line block ×3, first 2 shown]
	ds_write2_b64 v27, v[9:10], v[7:8] offset1:1
	ds_write2_b64 v42, v[11:12], v[13:14] offset1:1
	;; [unrolled: 1-line block ×4, first 2 shown]
	s_waitcnt lgkmcnt(0)
	; wave barrier
	s_waitcnt lgkmcnt(0)
	v_lshlrev_b32_e32 v1, 3, v36
	v_lshlrev_b32_e32 v2, 3, v37
	;; [unrolled: 1-line block ×3, first 2 shown]
	global_load_dwordx2 v[15:16], v0, s[8:9]
	global_load_dwordx2 v[17:18], v2, s[8:9]
	;; [unrolled: 1-line block ×4, first 2 shown]
	ds_read2_b64 v[0:3], v4 offset0:122 offset1:185
	ds_read2_b64 v[7:10], v46 offset0:120 offset1:183
	;; [unrolled: 1-line block ×3, first 2 shown]
	s_movk_i32 s4, 0x7c
	v_lshlrev_b32_e32 v56, 1, v20
	v_and_or_b32 v56, v56, s4, v36
	v_lshl_add_u32 v56, v56, 3, 0
	s_movk_i32 s4, 0xfc
	v_cmp_gt_u32_e32 vcc, 36, v20
	s_waitcnt vmcnt(3) lgkmcnt(2)
	v_mul_f32_e32 v19, v16, v3
	s_waitcnt vmcnt(2) lgkmcnt(1)
	v_mul_f32_e32 v23, v18, v10
	v_mul_f32_e32 v49, v18, v9
	s_waitcnt vmcnt(0)
	v_mul_f32_e32 v50, v34, v7
	v_mul_f32_e32 v18, v34, v8
	v_fma_f32 v53, v17, v9, -v23
	v_fmac_f32_e32 v50, v33, v8
	ds_read_b64 v[8:9], v39
	v_mul_f32_e32 v48, v16, v2
	v_mul_f32_e32 v16, v34, v1
	;; [unrolled: 1-line block ×3, first 2 shown]
	s_waitcnt lgkmcnt(1)
	v_mul_f32_e32 v43, v34, v12
	v_fma_f32 v54, v33, v7, -v18
	v_lshlrev_b32_e32 v7, 3, v22
	v_mul_f32_e32 v34, v34, v11
	v_mul_f32_e32 v45, v32, v14
	;; [unrolled: 1-line block ×3, first 2 shown]
	v_fmac_f32_e32 v48, v15, v3
	v_fma_f32 v3, v33, v0, -v16
	v_fmac_f32_e32 v44, v33, v1
	v_fma_f32 v55, v33, v11, -v43
	v_sub_u32_e32 v1, v6, v7
	v_lshlrev_b32_e32 v23, 3, v30
	v_lshlrev_b32_e32 v43, 3, v29
	v_fma_f32 v52, v15, v2, -v19
	v_fmac_f32_e32 v49, v17, v10
	v_fmac_f32_e32 v34, v33, v12
	v_fma_f32 v33, v31, v13, -v45
	v_fmac_f32_e32 v51, v31, v14
	v_sub_u32_e32 v0, v27, v23
	v_sub_u32_e32 v2, v42, v43
	ds_read_b64 v[10:11], v1
	ds_read_b64 v[12:13], v0
	;; [unrolled: 1-line block ×3, first 2 shown]
	s_waitcnt lgkmcnt(3)
	v_sub_f32_e32 v16, v8, v3
	v_sub_f32_e32 v17, v9, v44
	v_lshlrev_b32_e32 v44, 3, v28
	v_fma_f32 v8, v8, 2.0, -v16
	v_fma_f32 v9, v9, 2.0, -v17
	v_lshlrev_b32_e32 v45, 3, v26
	v_sub_u32_e32 v18, v40, v44
	v_sub_u32_e32 v3, v41, v45
	ds_read_b64 v[18:19], v18
	ds_read_b64 v[31:32], v3
	s_waitcnt lgkmcnt(0)
	; wave barrier
	s_waitcnt lgkmcnt(0)
	ds_write2_b64 v56, v[8:9], v[16:17] offset1:2
	v_lshlrev_b32_e32 v16, 1, v22
	v_sub_f32_e32 v8, v10, v52
	v_sub_f32_e32 v9, v11, v48
	v_and_or_b32 v16, v16, s4, v35
	v_fma_f32 v10, v10, 2.0, -v8
	v_fma_f32 v11, v11, 2.0, -v9
	v_lshl_add_u32 v16, v16, 3, 0
	ds_write2_b64 v16, v[10:11], v[8:9] offset1:2
	v_sub_f32_e32 v8, v12, v54
	v_fma_f32 v10, v12, 2.0, -v8
	s_movk_i32 s4, 0x1fc
	v_lshlrev_b32_e32 v12, 1, v30
	v_sub_f32_e32 v9, v13, v50
	v_and_or_b32 v12, v12, s4, v36
	v_fma_f32 v11, v13, 2.0, -v9
	v_lshl_add_u32 v12, v12, 3, 0
	ds_write2_b64 v12, v[10:11], v[8:9] offset1:2
	v_lshlrev_b32_e32 v12, 1, v29
	v_sub_f32_e32 v8, v14, v53
	v_sub_f32_e32 v9, v15, v49
	v_and_or_b32 v12, v12, s4, v37
	v_fma_f32 v10, v14, 2.0, -v8
	v_fma_f32 v11, v15, 2.0, -v9
	v_lshl_add_u32 v12, v12, 3, 0
	ds_write2_b64 v12, v[10:11], v[8:9] offset1:2
	s_movk_i32 s4, 0x3fc
	v_lshlrev_b32_e32 v12, 1, v26
	v_sub_f32_e32 v8, v31, v55
	v_sub_f32_e32 v9, v32, v34
	v_and_or_b32 v12, v12, s4, v36
	v_fma_f32 v10, v31, 2.0, -v8
	v_fma_f32 v11, v32, 2.0, -v9
	v_lshl_add_u32 v12, v12, 3, 0
	ds_write2_b64 v12, v[10:11], v[8:9] offset1:2
	s_movk_i32 s4, 0x2fc
	v_lshlrev_b32_e32 v12, 1, v28
	v_sub_f32_e32 v8, v18, v33
	v_sub_f32_e32 v9, v19, v51
	v_and_or_b32 v12, v12, s4, v38
	v_fma_f32 v10, v18, 2.0, -v8
	v_fma_f32 v11, v19, 2.0, -v9
	v_lshl_add_u32 v12, v12, 3, 0
	v_and_b32_e32 v48, 3, v22
	ds_write2_b64 v12, v[10:11], v[8:9] offset1:2
	v_lshlrev_b32_e32 v8, 4, v48
	s_waitcnt lgkmcnt(0)
	; wave barrier
	s_waitcnt lgkmcnt(0)
	global_load_dwordx4 v[8:11], v8, s[8:9] offset:16
	v_and_b32_e32 v49, 3, v30
	v_lshlrev_b32_e32 v12, 4, v49
	global_load_dwordx4 v[12:15], v12, s[8:9] offset:16
	ds_read2_b64 v[16:19], v4 offset0:59 offset1:122
	v_and_b32_e32 v50, 3, v20
	ds_read2_b64 v[35:38], v5 offset0:55 offset1:118
	v_lshlrev_b32_e32 v31, 4, v50
	global_load_dwordx4 v[31:34], v31, s[8:9] offset:16
	s_movk_i32 s4, 0xab
	v_sub_u32_e32 v7, 0, v7
	s_waitcnt vmcnt(2) lgkmcnt(1)
	v_mul_f32_e32 v51, v9, v17
	v_mul_f32_e32 v52, v9, v16
	v_fma_f32 v51, v8, v16, -v51
	v_fmac_f32_e32 v52, v8, v17
	s_waitcnt lgkmcnt(0)
	v_mul_f32_e32 v8, v11, v36
	v_fma_f32 v53, v10, v35, -v8
	v_mul_f32_e32 v35, v11, v35
	v_fmac_f32_e32 v35, v10, v36
	v_and_b32_e32 v36, 3, v29
	v_lshlrev_b32_e32 v8, 4, v36
	global_load_dwordx4 v[8:11], v8, s[8:9] offset:16
	s_waitcnt vmcnt(2)
	v_mul_f32_e32 v16, v13, v19
	v_mul_f32_e32 v55, v13, v18
	v_fma_f32 v54, v12, v18, -v16
	v_fmac_f32_e32 v55, v12, v19
	v_mul_f32_e32 v12, v38, v15
	v_fma_f32 v56, v37, v14, -v12
	ds_read_b64 v[12:13], v3
	ds_read_b64 v[16:17], v2
	v_mul_f32_e32 v37, v37, v15
	v_fmac_f32_e32 v37, v38, v14
	s_waitcnt vmcnt(1) lgkmcnt(1)
	v_mul_f32_e32 v14, v32, v13
	v_mul_f32_e32 v19, v32, v12
	v_fma_f32 v18, v31, v12, -v14
	v_fmac_f32_e32 v19, v31, v13
	ds_read2_b64 v[12:15], v4 offset0:185 offset1:248
	s_waitcnt lgkmcnt(0)
	v_mul_f32_e32 v31, v34, v15
	v_fma_f32 v31, v33, v14, -v31
	v_mul_f32_e32 v32, v34, v14
	v_fmac_f32_e32 v32, v33, v15
	v_sub_f32_e32 v58, v19, v32
	s_waitcnt vmcnt(0)
	v_mul_f32_e32 v14, v13, v9
	v_mul_f32_e32 v34, v12, v9
	v_fma_f32 v33, v12, v8, -v14
	v_fmac_f32_e32 v34, v13, v8
	ds_read_b64 v[8:9], v39 offset:5544
	ds_read_b64 v[12:13], v1
	ds_read_b64 v[14:15], v39
	s_waitcnt lgkmcnt(2)
	v_mul_f32_e32 v38, v9, v11
	v_mul_f32_e32 v57, v8, v11
	v_fma_f32 v38, v8, v10, -v38
	v_fmac_f32_e32 v57, v9, v10
	v_add_f32_e32 v9, v18, v31
	v_add_f32_e32 v10, v19, v32
	s_waitcnt lgkmcnt(0)
	v_add_f32_e32 v8, v14, v18
	v_fma_f32 v14, -0.5, v9, v14
	v_add_f32_e32 v9, v15, v19
	v_fmac_f32_e32 v15, -0.5, v10
	v_lshrrev_b32_e32 v10, 2, v20
	v_mul_u32_u24_e32 v10, 12, v10
	v_add_f32_e32 v8, v8, v31
	v_add_f32_e32 v9, v9, v32
	v_sub_f32_e32 v31, v18, v31
	v_or_b32_e32 v32, v10, v50
	v_mov_b32_e32 v10, v14
	v_mov_b32_e32 v11, v15
	v_fmac_f32_e32 v10, 0x3f5db3d7, v58
	v_fmac_f32_e32 v11, 0xbf5db3d7, v31
	v_lshl_add_u32 v32, v32, 3, 0
	ds_read_b64 v[18:19], v0
	s_waitcnt lgkmcnt(0)
	; wave barrier
	s_waitcnt lgkmcnt(0)
	ds_write2_b64 v32, v[8:9], v[10:11] offset1:4
	v_lshrrev_b32_e32 v10, 2, v22
	v_mul_lo_u32 v10, v10, 12
	v_add_f32_e32 v9, v51, v53
	v_add_f32_e32 v11, v52, v35
	v_fmac_f32_e32 v14, 0xbf5db3d7, v58
	v_fmac_f32_e32 v15, 0x3f5db3d7, v31
	v_add_f32_e32 v8, v12, v51
	v_fma_f32 v12, -0.5, v9, v12
	v_add_f32_e32 v9, v13, v52
	v_fmac_f32_e32 v13, -0.5, v11
	ds_write_b64 v32, v[14:15] offset:64
	v_sub_f32_e32 v14, v52, v35
	v_sub_f32_e32 v15, v51, v53
	v_or_b32_e32 v31, v10, v48
	v_mov_b32_e32 v10, v12
	v_mov_b32_e32 v11, v13
	v_add_f32_e32 v8, v8, v53
	v_add_f32_e32 v9, v9, v35
	v_fmac_f32_e32 v10, 0x3f5db3d7, v14
	v_fmac_f32_e32 v11, 0xbf5db3d7, v15
	v_lshl_add_u32 v31, v31, 3, 0
	ds_write2_b64 v31, v[8:9], v[10:11] offset1:4
	v_lshrrev_b32_e32 v10, 2, v30
	v_mul_lo_u32 v10, v10, 12
	v_add_f32_e32 v9, v54, v56
	v_add_f32_e32 v11, v55, v37
	v_fmac_f32_e32 v12, 0xbf5db3d7, v14
	v_fmac_f32_e32 v13, 0x3f5db3d7, v15
	v_add_f32_e32 v8, v18, v54
	v_fma_f32 v18, -0.5, v9, v18
	v_add_f32_e32 v9, v19, v55
	v_fmac_f32_e32 v19, -0.5, v11
	ds_write_b64 v31, v[12:13] offset:64
	v_sub_f32_e32 v12, v55, v37
	v_sub_f32_e32 v13, v54, v56
	v_or_b32_e32 v14, v10, v49
	v_mov_b32_e32 v10, v18
	v_mov_b32_e32 v11, v19
	v_add_f32_e32 v8, v8, v56
	v_add_f32_e32 v9, v9, v37
	v_fmac_f32_e32 v10, 0x3f5db3d7, v12
	v_fmac_f32_e32 v11, 0xbf5db3d7, v13
	v_lshl_add_u32 v14, v14, 3, 0
	;; [unrolled: 22-line block ×3, first 2 shown]
	ds_write2_b64 v14, v[8:9], v[10:11] offset1:4
	v_mul_lo_u16_sdwa v8, v22, s4 dst_sel:DWORD dst_unused:UNUSED_PAD src0_sel:BYTE_0 src1_sel:DWORD
	v_lshrrev_b16_e32 v48, 11, v8
	v_mul_lo_u16_e32 v8, 12, v48
	v_sub_u16_e32 v49, v22, v8
	v_mov_b32_e32 v50, 4
	v_fmac_f32_e32 v16, 0xbf5db3d7, v12
	v_fmac_f32_e32 v17, 0x3f5db3d7, v13
	v_lshlrev_b32_sdwa v8, v50, v49 dst_sel:DWORD dst_unused:UNUSED_PAD src0_sel:DWORD src1_sel:BYTE_0
	ds_write_b64 v14, v[16:17] offset:64
	s_waitcnt lgkmcnt(0)
	; wave barrier
	s_waitcnt lgkmcnt(0)
	global_load_dwordx4 v[8:11], v8, s[8:9] offset:80
	ds_read2_b64 v[12:15], v4 offset0:59 offset1:122
	ds_read2_b64 v[16:19], v5 offset0:55 offset1:118
	v_mul_lo_u16_sdwa v31, v20, s4 dst_sel:DWORD dst_unused:UNUSED_PAD src0_sel:BYTE_0 src1_sel:DWORD
	v_lshrrev_b16_e32 v51, 11, v31
	v_mul_lo_u16_e32 v31, 12, v51
	v_sub_u16_e32 v52, v20, v31
	v_lshlrev_b32_sdwa v31, v50, v52 dst_sel:DWORD dst_unused:UNUSED_PAD src0_sel:DWORD src1_sel:BYTE_0
	global_load_dwordx4 v[31:34], v31, s[8:9] offset:80
	s_waitcnt vmcnt(1) lgkmcnt(1)
	v_mul_f32_e32 v35, v9, v13
	v_mul_f32_e32 v54, v9, v12
	v_fma_f32 v53, v8, v12, -v35
	v_fmac_f32_e32 v54, v8, v13
	s_waitcnt lgkmcnt(0)
	v_mul_f32_e32 v8, v11, v17
	v_fma_f32 v55, v10, v16, -v8
	v_mul_lo_u16_sdwa v8, v30, s4 dst_sel:DWORD dst_unused:UNUSED_PAD src0_sel:BYTE_0 src1_sel:DWORD
	v_lshrrev_b16_e32 v57, 11, v8
	v_mul_lo_u16_e32 v8, 12, v57
	v_sub_u16_e32 v58, v30, v8
	v_mul_lo_u16_sdwa v8, v29, s4 dst_sel:DWORD dst_unused:UNUSED_PAD src0_sel:BYTE_0 src1_sel:DWORD
	v_lshrrev_b16_e32 v59, 11, v8
	v_mul_lo_u16_e32 v8, 12, v59
	v_mul_f32_e32 v56, v11, v16
	v_lshlrev_b32_sdwa v12, v50, v58 dst_sel:DWORD dst_unused:UNUSED_PAD src0_sel:DWORD src1_sel:BYTE_0
	v_sub_u16_e32 v60, v29, v8
	v_fmac_f32_e32 v56, v10, v17
	v_lshlrev_b32_sdwa v13, v50, v60 dst_sel:DWORD dst_unused:UNUSED_PAD src0_sel:DWORD src1_sel:BYTE_0
	global_load_dwordx4 v[8:11], v12, s[8:9] offset:80
	global_load_dwordx4 v[35:38], v13, s[8:9] offset:80
	s_waitcnt vmcnt(1)
	v_mul_f32_e32 v12, v9, v15
	v_mul_f32_e32 v62, v9, v14
	v_fma_f32 v61, v8, v14, -v12
	v_fmac_f32_e32 v62, v8, v15
	v_mul_f32_e32 v8, v19, v11
	v_fma_f32 v63, v18, v10, -v8
	ds_read_b64 v[8:9], v3
	ds_read_b64 v[12:13], v2
	v_mul_f32_e32 v64, v18, v11
	v_fmac_f32_e32 v64, v19, v10
	s_waitcnt lgkmcnt(1)
	v_mul_f32_e32 v10, v32, v9
	v_mul_f32_e32 v17, v32, v8
	v_fma_f32 v16, v31, v8, -v10
	v_fmac_f32_e32 v17, v31, v9
	ds_read2_b64 v[8:11], v4 offset0:185 offset1:248
	s_waitcnt lgkmcnt(0)
	v_mul_f32_e32 v14, v34, v11
	v_fma_f32 v18, v33, v10, -v14
	v_mul_f32_e32 v19, v34, v10
	s_waitcnt vmcnt(0)
	v_mul_f32_e32 v10, v9, v36
	v_mul_f32_e32 v32, v8, v36
	v_fmac_f32_e32 v19, v33, v11
	v_fma_f32 v31, v8, v35, -v10
	v_fmac_f32_e32 v32, v9, v35
	ds_read_b64 v[8:9], v39 offset:5544
	ds_read_b64 v[10:11], v1
	ds_read_b64 v[14:15], v39
	v_sub_f32_e32 v35, v17, v19
	v_sub_f32_e32 v36, v16, v18
	s_waitcnt lgkmcnt(2)
	v_mul_f32_e32 v34, v8, v38
	v_mul_f32_e32 v33, v9, v38
	v_fmac_f32_e32 v34, v9, v37
	v_add_f32_e32 v9, v16, v18
	v_fma_f32 v33, v8, v37, -v33
	s_waitcnt lgkmcnt(0)
	v_add_f32_e32 v8, v14, v16
	v_fma_f32 v14, -0.5, v9, v14
	v_add_f32_e32 v9, v15, v17
	v_add_f32_e32 v17, v17, v19
	v_mul_u32_u24_e32 v16, 0x120, v51
	v_mov_b32_e32 v51, 3
	v_fmac_f32_e32 v15, -0.5, v17
	v_lshlrev_b32_sdwa v17, v51, v52 dst_sel:DWORD dst_unused:UNUSED_PAD src0_sel:DWORD src1_sel:BYTE_0
	v_add3_u32 v37, 0, v16, v17
	v_mov_b32_e32 v16, v14
	v_mov_b32_e32 v17, v15
	v_add_f32_e32 v8, v8, v18
	v_add_f32_e32 v9, v9, v19
	v_fmac_f32_e32 v16, 0x3f5db3d7, v35
	v_fmac_f32_e32 v17, 0xbf5db3d7, v36
	;; [unrolled: 1-line block ×4, first 2 shown]
	ds_read_b64 v[18:19], v0
	s_waitcnt lgkmcnt(0)
	; wave barrier
	s_waitcnt lgkmcnt(0)
	ds_write2_b64 v37, v[8:9], v[16:17] offset1:12
	ds_write_b64 v37, v[14:15] offset:192
	v_add_f32_e32 v9, v53, v55
	v_add_f32_e32 v14, v54, v56
	;; [unrolled: 1-line block ×3, first 2 shown]
	v_fma_f32 v10, -0.5, v9, v10
	v_add_f32_e32 v9, v11, v54
	v_fmac_f32_e32 v11, -0.5, v14
	v_mul_u32_u24_e32 v14, 0x120, v48
	v_lshlrev_b32_sdwa v15, v51, v49 dst_sel:DWORD dst_unused:UNUSED_PAD src0_sel:DWORD src1_sel:BYTE_0
	v_sub_f32_e32 v16, v54, v56
	v_sub_f32_e32 v17, v53, v55
	v_add3_u32 v35, 0, v14, v15
	v_mov_b32_e32 v14, v10
	v_mov_b32_e32 v15, v11
	v_add_f32_e32 v8, v8, v55
	v_add_f32_e32 v9, v9, v56
	v_fmac_f32_e32 v14, 0x3f5db3d7, v16
	v_fmac_f32_e32 v15, 0xbf5db3d7, v17
	v_fmac_f32_e32 v10, 0xbf5db3d7, v16
	v_fmac_f32_e32 v11, 0x3f5db3d7, v17
	ds_write2_b64 v35, v[8:9], v[14:15] offset1:12
	ds_write_b64 v35, v[10:11] offset:192
	v_add_f32_e32 v9, v61, v63
	v_add_f32_e32 v10, v62, v64
	;; [unrolled: 1-line block ×3, first 2 shown]
	v_fma_f32 v18, -0.5, v9, v18
	v_add_f32_e32 v9, v19, v62
	v_fmac_f32_e32 v19, -0.5, v10
	v_mul_u32_u24_e32 v10, 0x120, v57
	v_lshlrev_b32_sdwa v11, v51, v58 dst_sel:DWORD dst_unused:UNUSED_PAD src0_sel:DWORD src1_sel:BYTE_0
	v_sub_f32_e32 v14, v62, v64
	v_sub_f32_e32 v15, v61, v63
	v_add3_u32 v16, 0, v10, v11
	v_mov_b32_e32 v10, v18
	v_mov_b32_e32 v11, v19
	v_add_f32_e32 v8, v8, v63
	v_add_f32_e32 v9, v9, v64
	v_fmac_f32_e32 v10, 0x3f5db3d7, v14
	v_fmac_f32_e32 v11, 0xbf5db3d7, v15
	ds_write2_b64 v16, v[8:9], v[10:11] offset1:12
	v_add_f32_e32 v9, v31, v33
	v_add_f32_e32 v10, v32, v34
	v_fmac_f32_e32 v18, 0xbf5db3d7, v14
	v_fmac_f32_e32 v19, 0x3f5db3d7, v15
	v_add_f32_e32 v8, v12, v31
	v_fma_f32 v12, -0.5, v9, v12
	v_add_f32_e32 v9, v13, v32
	v_fmac_f32_e32 v13, -0.5, v10
	v_mul_u32_u24_e32 v10, 0x120, v59
	v_lshlrev_b32_sdwa v11, v51, v60 dst_sel:DWORD dst_unused:UNUSED_PAD src0_sel:DWORD src1_sel:BYTE_0
	ds_write_b64 v16, v[18:19] offset:192
	v_sub_f32_e32 v14, v32, v34
	v_sub_f32_e32 v15, v31, v33
	v_add3_u32 v16, 0, v10, v11
	v_mov_b32_e32 v10, v12
	v_mov_b32_e32 v11, v13
	v_add_f32_e32 v8, v8, v33
	v_add_f32_e32 v9, v9, v34
	v_fmac_f32_e32 v10, 0x3f5db3d7, v14
	v_fmac_f32_e32 v11, 0xbf5db3d7, v15
	v_mov_b32_e32 v35, 57
	ds_write2_b64 v16, v[8:9], v[10:11] offset1:12
	v_mul_lo_u16_sdwa v8, v22, v35 dst_sel:DWORD dst_unused:UNUSED_PAD src0_sel:BYTE_0 src1_sel:DWORD
	v_lshrrev_b16_e32 v48, 11, v8
	v_mul_lo_u16_e32 v8, 36, v48
	v_sub_u16_e32 v49, v22, v8
	v_fmac_f32_e32 v12, 0xbf5db3d7, v14
	v_fmac_f32_e32 v13, 0x3f5db3d7, v15
	v_lshlrev_b32_sdwa v8, v50, v49 dst_sel:DWORD dst_unused:UNUSED_PAD src0_sel:DWORD src1_sel:BYTE_0
	ds_write_b64 v16, v[12:13] offset:192
	s_waitcnt lgkmcnt(0)
	; wave barrier
	s_waitcnt lgkmcnt(0)
	global_load_dwordx4 v[8:11], v8, s[8:9] offset:272
	ds_read2_b64 v[12:15], v4 offset0:59 offset1:122
	ds_read2_b64 v[16:19], v5 offset0:55 offset1:118
	v_subrev_u32_e32 v31, 36, v20
	v_cndmask_b32_e32 v52, v31, v20, vcc
	v_lshlrev_b32_e32 v31, 1, v52
	v_mov_b32_e32 v32, 0
	v_lshlrev_b64 v[31:32], 3, v[31:32]
	v_mov_b32_e32 v33, s9
	v_add_co_u32_e32 v31, vcc, s8, v31
	v_addc_co_u32_e32 v32, vcc, v33, v32, vcc
	global_load_dwordx4 v[31:34], v[31:32], off offset:272
	v_cmp_lt_u32_e32 vcc, 35, v20
	s_waitcnt vmcnt(1) lgkmcnt(1)
	v_mul_f32_e32 v36, v9, v13
	v_mul_f32_e32 v54, v9, v12
	v_fma_f32 v53, v8, v12, -v36
	v_fmac_f32_e32 v54, v8, v13
	s_waitcnt lgkmcnt(0)
	v_mul_f32_e32 v8, v11, v17
	v_fma_f32 v55, v10, v16, -v8
	v_mul_f32_e32 v16, v11, v16
	v_mul_lo_u16_sdwa v8, v30, v35 dst_sel:DWORD dst_unused:UNUSED_PAD src0_sel:BYTE_0 src1_sel:DWORD
	v_fmac_f32_e32 v16, v10, v17
	v_lshrrev_b16_e32 v17, 11, v8
	v_mul_lo_u16_e32 v8, 36, v17
	v_sub_u16_e32 v56, v30, v8
	v_mul_lo_u16_sdwa v8, v29, v35 dst_sel:DWORD dst_unused:UNUSED_PAD src0_sel:BYTE_0 src1_sel:DWORD
	v_lshrrev_b16_e32 v57, 11, v8
	v_mul_lo_u16_e32 v8, 36, v57
	v_lshlrev_b32_sdwa v12, v50, v56 dst_sel:DWORD dst_unused:UNUSED_PAD src0_sel:DWORD src1_sel:BYTE_0
	v_sub_u16_e32 v58, v29, v8
	v_lshlrev_b32_sdwa v13, v50, v58 dst_sel:DWORD dst_unused:UNUSED_PAD src0_sel:DWORD src1_sel:BYTE_0
	global_load_dwordx4 v[8:11], v12, s[8:9] offset:272
	global_load_dwordx4 v[35:38], v13, s[8:9] offset:272
	s_waitcnt vmcnt(1)
	v_mul_f32_e32 v12, v9, v15
	v_mul_f32_e32 v59, v9, v14
	v_fma_f32 v50, v8, v14, -v12
	v_fmac_f32_e32 v59, v8, v15
	v_mul_f32_e32 v8, v19, v11
	v_fma_f32 v60, v18, v10, -v8
	ds_read_b64 v[8:9], v3
	ds_read_b64 v[2:3], v2
	v_mul_f32_e32 v18, v18, v11
	v_fmac_f32_e32 v18, v19, v10
	s_waitcnt lgkmcnt(1)
	v_mul_f32_e32 v10, v32, v9
	v_mul_f32_e32 v15, v32, v8
	v_fma_f32 v14, v31, v8, -v10
	v_fmac_f32_e32 v15, v31, v9
	ds_read2_b64 v[8:11], v4 offset0:185 offset1:248
	s_waitcnt lgkmcnt(0)
	v_mul_f32_e32 v12, v34, v11
	v_fma_f32 v19, v33, v10, -v12
	v_mul_f32_e32 v31, v34, v10
	s_waitcnt vmcnt(0)
	v_mul_f32_e32 v10, v9, v36
	v_mul_f32_e32 v62, v8, v36
	v_fmac_f32_e32 v31, v33, v11
	v_fma_f32 v61, v8, v35, -v10
	v_fmac_f32_e32 v62, v9, v35
	ds_read_b64 v[8:9], v1
	ds_read_b64 v[10:11], v39 offset:5544
	ds_read_b64 v[12:13], v39
	ds_read_b64 v[33:34], v0
	s_waitcnt lgkmcnt(0)
	; wave barrier
	s_waitcnt lgkmcnt(0)
	v_mul_f32_e32 v1, v11, v38
	v_fma_f32 v63, v10, v37, -v1
	v_mul_f32_e32 v38, v10, v38
	v_add_f32_e32 v1, v12, v14
	v_add_f32_e32 v10, v14, v19
	v_fma_f32 v12, -0.5, v10, v12
	v_add_f32_e32 v10, v1, v19
	v_add_f32_e32 v1, v13, v15
	v_fmac_f32_e32 v38, v11, v37
	v_add_f32_e32 v11, v1, v31
	v_sub_f32_e32 v1, v15, v31
	v_add_f32_e32 v15, v15, v31
	v_sub_f32_e32 v19, v14, v19
	v_mov_b32_e32 v14, 0x360
	v_fmac_f32_e32 v13, -0.5, v15
	v_cndmask_b32_e32 v14, 0, v14, vcc
	v_lshlrev_b32_e32 v15, 3, v52
	v_add3_u32 v31, 0, v14, v15
	v_mov_b32_e32 v14, v12
	v_mov_b32_e32 v15, v13
	v_fmac_f32_e32 v14, 0x3f5db3d7, v1
	v_fmac_f32_e32 v15, 0xbf5db3d7, v19
	ds_write2_b64 v31, v[10:11], v[14:15] offset1:36
	v_fmac_f32_e32 v12, 0xbf5db3d7, v1
	v_add_f32_e32 v1, v53, v55
	v_add_f32_e32 v10, v54, v16
	v_fmac_f32_e32 v13, 0x3f5db3d7, v19
	v_add_f32_e32 v0, v8, v53
	v_fma_f32 v8, -0.5, v1, v8
	v_add_f32_e32 v1, v9, v54
	v_fmac_f32_e32 v9, -0.5, v10
	v_mul_u32_u24_e32 v10, 0x360, v48
	v_lshlrev_b32_sdwa v11, v51, v49 dst_sel:DWORD dst_unused:UNUSED_PAD src0_sel:DWORD src1_sel:BYTE_0
	ds_write_b64 v31, v[12:13] offset:576
	v_sub_f32_e32 v12, v54, v16
	v_sub_f32_e32 v13, v53, v55
	v_add3_u32 v14, 0, v10, v11
	v_mov_b32_e32 v10, v8
	v_mov_b32_e32 v11, v9
	v_add_f32_e32 v0, v0, v55
	v_add_f32_e32 v1, v1, v16
	v_fmac_f32_e32 v10, 0x3f5db3d7, v12
	v_fmac_f32_e32 v11, 0xbf5db3d7, v13
	;; [unrolled: 1-line block ×4, first 2 shown]
	ds_write2_b64 v14, v[0:1], v[10:11] offset1:36
	ds_write_b64 v14, v[8:9] offset:576
	v_add_f32_e32 v1, v50, v60
	v_add_f32_e32 v9, v59, v18
	;; [unrolled: 1-line block ×3, first 2 shown]
	v_fma_f32 v33, -0.5, v1, v33
	v_add_f32_e32 v1, v34, v59
	v_fmac_f32_e32 v34, -0.5, v9
	v_sub_f32_e32 v8, v59, v18
	v_sub_f32_e32 v9, v50, v60
	v_mul_u32_u24_e32 v10, 0x360, v17
	v_lshlrev_b32_sdwa v11, v51, v56 dst_sel:DWORD dst_unused:UNUSED_PAD src0_sel:DWORD src1_sel:BYTE_0
	v_mov_b32_e32 v31, v33
	v_mov_b32_e32 v32, v34
	v_add_f32_e32 v0, v0, v60
	v_add_f32_e32 v1, v1, v18
	v_add3_u32 v10, 0, v10, v11
	v_fmac_f32_e32 v31, 0x3f5db3d7, v8
	v_fmac_f32_e32 v32, 0xbf5db3d7, v9
	ds_write2_b64 v10, v[0:1], v[31:32] offset1:36
	v_add_f32_e32 v1, v2, v61
	v_add_f32_e32 v0, v61, v63
	;; [unrolled: 1-line block ×4, first 2 shown]
	v_fma_f32 v2, -0.5, v0, v2
	v_add_f32_e32 v36, v1, v38
	v_add_f32_e32 v1, v62, v38
	v_fmac_f32_e32 v33, 0xbf5db3d7, v8
	v_mov_b32_e32 v0, v2
	v_sub_f32_e32 v8, v62, v38
	v_fmac_f32_e32 v3, -0.5, v1
	v_fmac_f32_e32 v0, 0x3f5db3d7, v8
	v_fmac_f32_e32 v2, 0xbf5db3d7, v8
	v_sub_f32_e32 v8, v61, v63
	v_mov_b32_e32 v1, v3
	v_fmac_f32_e32 v34, 0x3f5db3d7, v9
	v_fmac_f32_e32 v1, 0xbf5db3d7, v8
	;; [unrolled: 1-line block ×3, first 2 shown]
	v_lshlrev_b32_sdwa v8, v51, v58 dst_sel:DWORD dst_unused:UNUSED_PAD src0_sel:DWORD src1_sel:BYTE_0
	v_mul_u32_u24_e32 v9, 0x360, v57
	v_add3_u32 v8, 0, v9, v8
	ds_write_b64 v10, v[33:34] offset:576
	ds_write2_b64 v8, v[35:36], v[0:1] offset1:36
	ds_write_b64 v8, v[2:3] offset:576
	s_waitcnt lgkmcnt(0)
	; wave barrier
	s_waitcnt lgkmcnt(0)
	ds_read_b64 v[37:38], v39 offset:5184
	ds_read2_b64 v[8:11], v39 offset1:108
	ds_read2_b64 v[16:19], v47 offset0:88 offset1:196
	ds_read2_b64 v[12:15], v46 offset0:48 offset1:156
	v_add_u32_e32 v48, v6, v7
	v_cmp_gt_u32_e32 vcc, 45, v20
                                        ; implicit-def: $vgpr7
	s_and_saveexec_b64 s[4:5], vcc
	s_cbranch_execz .LBB0_15
; %bb.14:
	ds_read_b64 v[31:32], v48
	ds_read_b64 v[33:34], v39 offset:1368
	ds_read2_b32 v[35:36], v4 offset0:46 offset1:47
	ds_read2_b64 v[0:3], v4 offset0:131 offset1:239
	ds_read2_b64 v[4:7], v5 offset0:91 offset1:199
.LBB0_15:
	s_or_b64 exec, exec, s[4:5]
	v_mul_u32_u24_e32 v49, 6, v20
	v_lshlrev_b32_e32 v61, 3, v49
	global_load_dwordx4 v[49:52], v61, s[8:9] offset:880
	global_load_dwordx4 v[53:56], v61, s[8:9] offset:864
	;; [unrolled: 1-line block ×3, first 2 shown]
	s_mov_b32 s6, 0x3f5ff5aa
	s_mov_b32 s7, 0x3f3bfb3b
	;; [unrolled: 1-line block ×4, first 2 shown]
	s_waitcnt lgkmcnt(0)
	; wave barrier
	s_waitcnt vmcnt(0) lgkmcnt(0)
	v_mul_f32_e32 v61, v58, v11
	v_fma_f32 v61, v57, v10, -v61
	v_mul_f32_e32 v10, v58, v10
	v_fmac_f32_e32 v10, v57, v11
	v_mul_f32_e32 v11, v60, v17
	v_fma_f32 v11, v59, v16, -v11
	v_mul_f32_e32 v16, v60, v16
	v_fmac_f32_e32 v16, v59, v17
	;; [unrolled: 4-line block ×6, first 2 shown]
	v_add_f32_e32 v38, v61, v15
	v_add_f32_e32 v49, v10, v37
	v_sub_f32_e32 v10, v10, v37
	v_add_f32_e32 v37, v11, v13
	v_add_f32_e32 v50, v16, v14
	v_sub_f32_e32 v11, v11, v13
	v_sub_f32_e32 v13, v16, v14
	v_add_f32_e32 v14, v17, v19
	v_add_f32_e32 v16, v18, v12
	v_sub_f32_e32 v12, v12, v18
	v_add_f32_e32 v18, v37, v38
	v_sub_f32_e32 v17, v19, v17
	;; [unrolled: 2-line block ×3, first 2 shown]
	v_sub_f32_e32 v38, v38, v14
	v_sub_f32_e32 v37, v14, v37
	v_add_f32_e32 v14, v14, v18
	v_sub_f32_e32 v52, v50, v49
	v_sub_f32_e32 v49, v49, v16
	;; [unrolled: 1-line block ×3, first 2 shown]
	v_add_f32_e32 v16, v16, v19
	v_add_f32_e32 v8, v14, v8
	v_sub_f32_e32 v15, v61, v15
	v_add_f32_e32 v53, v17, v11
	v_add_f32_e32 v54, v12, v13
	v_sub_f32_e32 v55, v17, v11
	v_sub_f32_e32 v56, v12, v13
	v_add_f32_e32 v9, v16, v9
	v_mov_b32_e32 v57, v8
	v_sub_f32_e32 v17, v15, v17
	v_sub_f32_e32 v12, v10, v12
	;; [unrolled: 1-line block ×4, first 2 shown]
	v_add_f32_e32 v15, v53, v15
	v_add_f32_e32 v10, v54, v10
	v_mul_f32_e32 v18, 0x3f4a47b2, v38
	v_mul_f32_e32 v19, 0x3f4a47b2, v49
	;; [unrolled: 1-line block ×6, first 2 shown]
	v_fmac_f32_e32 v57, 0xbf955555, v14
	v_mov_b32_e32 v14, v9
	v_mul_f32_e32 v55, 0x3f5ff5aa, v11
	v_mul_f32_e32 v56, 0x3f5ff5aa, v13
	v_fmac_f32_e32 v14, 0xbf955555, v16
	v_fma_f32 v16, v51, s7, -v38
	v_fma_f32 v38, v52, s7, -v49
	v_fma_f32 v49, v51, s10, -v18
	v_fmac_f32_e32 v18, 0x3d64c772, v37
	v_fma_f32 v37, v52, s10, -v19
	v_fmac_f32_e32 v19, 0x3d64c772, v50
	v_fma_f32 v50, v11, s6, -v53
	v_fmac_f32_e32 v53, 0x3eae86e6, v17
	v_fma_f32 v51, v13, s6, -v54
	v_fmac_f32_e32 v54, 0x3eae86e6, v12
	v_fma_f32 v52, v17, s11, -v55
	v_fma_f32 v55, v12, s11, -v56
	v_add_f32_e32 v56, v18, v57
	v_add_f32_e32 v58, v19, v14
	v_fmac_f32_e32 v53, 0x3ee1c552, v15
	v_fmac_f32_e32 v54, 0x3ee1c552, v10
	v_add_f32_e32 v16, v16, v57
	v_add_f32_e32 v17, v38, v14
	;; [unrolled: 1-line block ×4, first 2 shown]
	v_fmac_f32_e32 v50, 0x3ee1c552, v15
	v_fmac_f32_e32 v51, 0x3ee1c552, v10
	;; [unrolled: 1-line block ×4, first 2 shown]
	v_add_f32_e32 v10, v54, v56
	v_sub_f32_e32 v11, v58, v53
	v_add_f32_e32 v12, v55, v18
	v_sub_f32_e32 v13, v19, v52
	v_sub_f32_e32 v14, v16, v51
	v_add_f32_e32 v15, v50, v17
	v_add_f32_e32 v16, v51, v16
	v_sub_f32_e32 v17, v17, v50
	v_sub_f32_e32 v18, v18, v55
	v_add_f32_e32 v19, v52, v19
	v_sub_f32_e32 v37, v56, v54
	v_add_f32_e32 v38, v53, v58
	ds_write2_b64 v39, v[8:9], v[10:11] offset1:108
	ds_write2_b64 v47, v[12:13], v[14:15] offset0:88 offset1:196
	ds_write2_b64 v46, v[16:17], v[18:19] offset0:48 offset1:156
	ds_write_b64 v39, v[37:38] offset:5184
	s_and_saveexec_b64 s[4:5], vcc
	s_cbranch_execz .LBB0_17
; %bb.16:
	v_subrev_u32_e32 v8, 45, v20
	v_cndmask_b32_e32 v8, v8, v22, vcc
	v_mul_i32_i24_e32 v8, 6, v8
	v_mov_b32_e32 v9, 0
	v_lshlrev_b64 v[8:9], 3, v[8:9]
	v_mov_b32_e32 v10, s9
	v_add_co_u32_e32 v37, vcc, s8, v8
	v_addc_co_u32_e32 v38, vcc, v10, v9, vcc
	global_load_dwordx4 v[8:11], v[37:38], off offset:848
	global_load_dwordx4 v[12:15], v[37:38], off offset:880
	global_load_dwordx4 v[16:19], v[37:38], off offset:864
	s_waitcnt vmcnt(2)
	v_mul_f32_e32 v37, v34, v9
	s_waitcnt vmcnt(1)
	v_mul_f32_e32 v38, v7, v15
	;; [unrolled: 2-line block ×3, first 2 shown]
	v_mul_f32_e32 v47, v1, v17
	v_mul_f32_e32 v49, v36, v11
	;; [unrolled: 1-line block ×9, first 2 shown]
	v_fma_f32 v33, v33, v8, -v37
	v_fma_f32 v6, v6, v14, -v38
	;; [unrolled: 1-line block ×6, first 2 shown]
	v_fmac_f32_e32 v15, v7, v14
	v_fmac_f32_e32 v9, v34, v8
	;; [unrolled: 1-line block ×6, first 2 shown]
	v_sub_f32_e32 v1, v33, v6
	v_sub_f32_e32 v3, v2, v0
	;; [unrolled: 1-line block ×3, first 2 shown]
	v_add_f32_e32 v7, v9, v15
	v_add_f32_e32 v8, v17, v19
	;; [unrolled: 1-line block ×6, first 2 shown]
	v_sub_f32_e32 v9, v9, v15
	v_sub_f32_e32 v2, v19, v17
	;; [unrolled: 1-line block ×5, first 2 shown]
	v_add_f32_e32 v3, v3, v5
	v_sub_f32_e32 v14, v7, v8
	v_add_f32_e32 v16, v10, v7
	v_sub_f32_e32 v17, v6, v0
	;; [unrolled: 2-line block ×3, first 2 shown]
	v_sub_f32_e32 v33, v9, v2
	v_sub_f32_e32 v34, v2, v11
	v_add_f32_e32 v2, v2, v11
	v_sub_f32_e32 v35, v5, v1
	v_sub_f32_e32 v7, v10, v7
	v_mul_f32_e32 v10, 0xbf08b237, v13
	v_add_f32_e32 v13, v3, v1
	v_mul_f32_e32 v5, 0x3f4a47b2, v14
	v_add_f32_e32 v3, v8, v16
	v_mul_f32_e32 v8, 0x3f4a47b2, v17
	v_add_f32_e32 v17, v0, v19
	v_sub_f32_e32 v18, v0, v4
	v_mul_f32_e32 v19, 0xbf08b237, v34
	v_add_f32_e32 v34, v2, v9
	v_mul_f32_e32 v2, 0x3f5ff5aa, v35
	v_mov_b32_e32 v36, v10
	v_mov_b32_e32 v37, v5
	v_add_f32_e32 v1, v32, v3
	v_add_f32_e32 v0, v31, v17
	v_mul_f32_e32 v14, 0x3d64c772, v15
	v_fma_f32 v38, v12, s11, -v2
	v_fmac_f32_e32 v36, 0x3eae86e6, v12
	v_fmac_f32_e32 v37, 0x3d64c772, v15
	v_mov_b32_e32 v12, v1
	v_mov_b32_e32 v15, v0
	v_sub_f32_e32 v6, v4, v6
	v_mov_b32_e32 v32, v8
	v_mov_b32_e32 v31, v19
	v_fmac_f32_e32 v12, 0xbf955555, v3
	v_fmac_f32_e32 v15, 0xbf955555, v17
	v_fma_f32 v4, v6, s10, -v8
	v_sub_f32_e32 v8, v11, v9
	v_mul_f32_e32 v16, 0x3d64c772, v18
	v_fmac_f32_e32 v32, 0x3d64c772, v18
	v_fmac_f32_e32 v31, 0x3eae86e6, v33
	v_add_f32_e32 v17, v37, v12
	v_add_f32_e32 v37, v4, v15
	v_mul_f32_e32 v4, 0x3f5ff5aa, v8
	v_fmac_f32_e32 v36, 0x3ee1c552, v13
	v_fmac_f32_e32 v31, 0x3ee1c552, v34
	v_add_f32_e32 v18, v32, v15
	v_fma_f32 v5, v7, s10, -v5
	v_fma_f32 v33, v33, s11, -v4
	;; [unrolled: 1-line block ×6, first 2 shown]
	v_fmac_f32_e32 v38, 0x3ee1c552, v13
	v_add_f32_e32 v32, v5, v12
	v_fmac_f32_e32 v33, 0x3ee1c552, v34
	v_add_f32_e32 v9, v7, v12
	v_fmac_f32_e32 v10, 0x3ee1c552, v13
	v_fmac_f32_e32 v8, 0x3ee1c552, v34
	v_add_f32_e32 v11, v6, v15
	v_sub_f32_e32 v13, v17, v36
	v_add_f32_e32 v12, v31, v18
	v_sub_f32_e32 v7, v9, v10
	v_add_f32_e32 v6, v8, v11
	v_add_f32_e32 v9, v10, v9
	v_sub_f32_e32 v8, v11, v8
	v_sub_f32_e32 v11, v32, v38
	v_add_f32_e32 v10, v33, v37
	ds_write2_b64 v39, v[0:1], v[12:13] offset0:63 offset1:171
	v_add_u32_e32 v0, 0x800, v39
	v_add_f32_e32 v5, v38, v32
	v_sub_f32_e32 v4, v37, v33
	ds_write2_b64 v0, v[10:11], v[8:9] offset0:23 offset1:131
	v_add_u32_e32 v0, 0xc00, v39
	v_add_f32_e32 v3, v36, v17
	v_sub_f32_e32 v2, v18, v31
	ds_write2_b64 v0, v[6:7], v[4:5] offset0:111 offset1:219
	ds_write_b64 v39, v[2:3] offset:5688
.LBB0_17:
	s_or_b64 exec, exec, s[4:5]
	s_waitcnt lgkmcnt(0)
	; wave barrier
	s_waitcnt lgkmcnt(0)
	ds_read_b64 v[2:3], v39
	s_add_u32 s6, s8, 0x1790
	s_addc_u32 s7, s9, 0
	v_sub_u32_e32 v4, 0, v21
	v_cmp_ne_u32_e32 vcc, 0, v20
                                        ; implicit-def: $vgpr0
                                        ; implicit-def: $vgpr7
                                        ; implicit-def: $vgpr8
	s_and_saveexec_b64 s[4:5], vcc
	s_xor_b64 s[4:5], exec, s[4:5]
	s_cbranch_execz .LBB0_19
; %bb.18:
	v_mov_b32_e32 v21, 0
	v_lshlrev_b64 v[0:1], 3, v[20:21]
	v_mov_b32_e32 v5, s7
	v_add_co_u32_e32 v0, vcc, s6, v0
	v_addc_co_u32_e32 v1, vcc, v5, v1, vcc
	global_load_dwordx2 v[5:6], v[0:1], off
	ds_read_b64 v[0:1], v4 offset:6048
	s_waitcnt lgkmcnt(0)
	v_add_f32_e32 v9, v0, v2
	v_sub_f32_e32 v0, v2, v0
	v_add_f32_e32 v7, v1, v3
	v_sub_f32_e32 v1, v3, v1
	v_mul_f32_e32 v3, 0.5, v0
	v_mul_f32_e32 v2, 0.5, v7
	;; [unrolled: 1-line block ×3, first 2 shown]
	s_waitcnt vmcnt(0)
	v_mul_f32_e32 v1, v6, v3
	v_fma_f32 v8, v2, v6, v0
	v_fma_f32 v6, v2, v6, -v0
	v_fma_f32 v7, 0.5, v9, v1
	v_fma_f32 v0, v9, 0.5, -v1
	v_fma_f32 v8, -v5, v3, v8
	v_fmac_f32_e32 v7, v5, v2
	v_fma_f32 v0, -v5, v2, v0
	v_fma_f32 v1, -v5, v3, v6
                                        ; implicit-def: $vgpr2_vgpr3
.LBB0_19:
	s_or_saveexec_b64 s[4:5], s[4:5]
	v_sub_u32_e32 v9, 0, v23
	v_sub_u32_e32 v10, 0, v43
	;; [unrolled: 1-line block ×4, first 2 shown]
	s_xor_b64 exec, exec, s[4:5]
	s_cbranch_execz .LBB0_21
; %bb.20:
	v_mov_b32_e32 v8, 0
	ds_read_b32 v1, v8 offset:3028
	s_waitcnt lgkmcnt(1)
	v_add_f32_e32 v7, v2, v3
	v_sub_f32_e32 v0, v2, v3
	s_waitcnt lgkmcnt(0)
	v_xor_b32_e32 v1, 0x80000000, v1
	ds_write_b32 v8, v1 offset:3028
	v_mov_b32_e32 v1, 0
.LBB0_21:
	s_or_b64 exec, exec, s[4:5]
	v_mov_b32_e32 v23, 0
	s_waitcnt lgkmcnt(0)
	v_lshlrev_b64 v[2:3], 3, v[22:23]
	v_mov_b32_e32 v11, s7
	v_add_co_u32_e32 v2, vcc, s6, v2
	v_addc_co_u32_e32 v3, vcc, v11, v3, vcc
	global_load_dwordx2 v[2:3], v[2:3], off
	v_mov_b32_e32 v31, v23
	v_lshlrev_b64 v[11:12], 3, v[30:31]
	v_mov_b32_e32 v13, s7
	v_add_co_u32_e32 v11, vcc, s6, v11
	v_addc_co_u32_e32 v12, vcc, v13, v12, vcc
	global_load_dwordx2 v[11:12], v[11:12], off
	v_mov_b32_e32 v30, v23
	v_lshlrev_b64 v[13:14], 3, v[29:30]
	v_mov_b32_e32 v15, s7
	v_add_co_u32_e32 v13, vcc, s6, v13
	v_addc_co_u32_e32 v14, vcc, v15, v14, vcc
	global_load_dwordx2 v[13:14], v[13:14], off
	v_add_u32_e32 v17, v27, v9
	v_mov_b32_e32 v27, v23
	v_add_u32_e32 v18, v42, v10
	v_lshlrev_b64 v[9:10], 3, v[26:27]
	ds_write2_b32 v39, v7, v8 offset1:1
	ds_write_b64 v4, v[0:1] offset:6048
	v_mov_b32_e32 v19, s7
	v_add_co_u32_e32 v9, vcc, s6, v9
	ds_read_b64 v[0:1], v48
	ds_read_b64 v[7:8], v4 offset:5544
	v_addc_co_u32_e32 v10, vcc, v19, v10, vcc
	global_load_dwordx2 v[9:10], v[9:10], off
	v_mov_b32_e32 v29, v23
	s_waitcnt lgkmcnt(0)
	v_add_f32_e32 v19, v0, v7
	v_sub_f32_e32 v0, v0, v7
	v_add_f32_e32 v22, v1, v8
	v_sub_f32_e32 v1, v1, v8
	v_mul_f32_e32 v0, 0.5, v0
	v_lshlrev_b64 v[15:16], 3, v[28:29]
	v_mul_f32_e32 v7, 0.5, v22
	v_mul_f32_e32 v1, 0.5, v1
	v_mov_b32_e32 v21, s7
	v_add_u32_e32 v6, v41, v6
	v_add_u32_e32 v5, v40, v5
	s_waitcnt vmcnt(3)
	v_mul_f32_e32 v8, v3, v0
	v_fma_f32 v22, v7, v3, v1
	v_fma_f32 v1, v7, v3, -v1
	v_fma_f32 v3, 0.5, v19, v8
	v_fma_f32 v8, v19, 0.5, -v8
	v_fma_f32 v22, -v2, v0, v22
	v_fma_f32 v0, -v2, v0, v1
	v_fmac_f32_e32 v3, v2, v7
	v_fma_f32 v1, -v2, v7, v8
	v_add_co_u32_e32 v7, vcc, s6, v15
	ds_write_b32 v48, v22 offset:4
	ds_write_b32 v4, v0 offset:5548
	ds_write_b32 v48, v3
	ds_write_b32 v4, v1 offset:5544
	v_addc_co_u32_e32 v8, vcc, v21, v16, vcc
	ds_read_b64 v[0:1], v17
	ds_read_b64 v[2:3], v4 offset:5040
	global_load_dwordx2 v[7:8], v[7:8], off
	s_waitcnt lgkmcnt(0)
	v_add_f32_e32 v15, v0, v2
	v_add_f32_e32 v16, v1, v3
	v_sub_f32_e32 v0, v0, v2
	v_sub_f32_e32 v1, v1, v3
	v_mul_f32_e32 v2, 0.5, v16
	v_mul_f32_e32 v0, 0.5, v0
	v_mul_f32_e32 v1, 0.5, v1
	s_waitcnt vmcnt(3)
	v_mul_f32_e32 v3, v12, v0
	v_fma_f32 v16, v2, v12, v1
	v_fma_f32 v1, v2, v12, -v1
	v_fma_f32 v12, 0.5, v15, v3
	v_fma_f32 v16, -v11, v0, v16
	v_fma_f32 v3, v15, 0.5, -v3
	v_fma_f32 v0, -v11, v0, v1
	v_fmac_f32_e32 v12, v11, v2
	ds_write_b32 v17, v16 offset:4
	v_fma_f32 v1, -v11, v2, v3
	ds_write_b32 v4, v0 offset:5044
	ds_write_b32 v17, v12
	ds_write_b32 v4, v1 offset:5040
	ds_read_b64 v[0:1], v18
	ds_read_b64 v[2:3], v4 offset:4536
	s_waitcnt lgkmcnt(0)
	v_add_f32_e32 v11, v0, v2
	v_add_f32_e32 v12, v1, v3
	v_sub_f32_e32 v0, v0, v2
	v_sub_f32_e32 v1, v1, v3
	v_mul_f32_e32 v2, 0.5, v12
	v_mul_f32_e32 v0, 0.5, v0
	v_mul_f32_e32 v1, 0.5, v1
	s_waitcnt vmcnt(2)
	v_mul_f32_e32 v3, v14, v0
	v_fma_f32 v12, v2, v14, v1
	v_fma_f32 v1, v2, v14, -v1
	v_fma_f32 v14, 0.5, v11, v3
	v_fma_f32 v12, -v13, v0, v12
	v_fma_f32 v3, v11, 0.5, -v3
	v_fma_f32 v0, -v13, v0, v1
	v_fmac_f32_e32 v14, v13, v2
	ds_write_b32 v18, v12 offset:4
	v_fma_f32 v1, -v13, v2, v3
	ds_write_b32 v4, v0 offset:4540
	ds_write_b32 v18, v14
	ds_write_b32 v4, v1 offset:4536
	ds_read_b64 v[0:1], v6
	ds_read_b64 v[2:3], v4 offset:4032
	;; [unrolled: 24-line block ×3, first 2 shown]
	s_waitcnt lgkmcnt(0)
	v_add_f32_e32 v6, v0, v2
	v_add_f32_e32 v9, v1, v3
	v_sub_f32_e32 v0, v0, v2
	v_sub_f32_e32 v1, v1, v3
	v_mul_f32_e32 v9, 0.5, v9
	v_mul_f32_e32 v0, 0.5, v0
	;; [unrolled: 1-line block ×3, first 2 shown]
	s_waitcnt vmcnt(0)
	v_mul_f32_e32 v2, v8, v0
	v_fma_f32 v10, v9, v8, v1
	v_fma_f32 v1, v9, v8, -v1
	v_fma_f32 v3, 0.5, v6, v2
	v_fma_f32 v10, -v7, v0, v10
	v_fma_f32 v2, v6, 0.5, -v2
	v_fma_f32 v0, -v7, v0, v1
	v_fmac_f32_e32 v3, v7, v9
	ds_write_b32 v5, v10 offset:4
	v_fma_f32 v2, -v7, v9, v2
	ds_write_b32 v4, v0 offset:3532
	ds_write_b32 v5, v3
	ds_write_b32 v4, v2 offset:3528
	s_waitcnt lgkmcnt(0)
	; wave barrier
	s_waitcnt lgkmcnt(0)
	s_and_saveexec_b64 s[4:5], s[0:1]
	s_cbranch_execz .LBB0_24
; %bb.22:
	v_mov_b32_e32 v21, v23
	ds_read2_b64 v[2:5], v39 offset1:63
	v_mov_b32_e32 v0, s3
	v_add_co_u32_e32 v1, vcc, s2, v24
	v_lshlrev_b64 v[10:11], 3, v[20:21]
	v_addc_co_u32_e32 v0, vcc, v0, v25, vcc
	ds_read2_b64 v[6:9], v39 offset0:126 offset1:189
	v_add_co_u32_e32 v14, vcc, v1, v10
	v_addc_co_u32_e32 v15, vcc, v0, v11, vcc
	s_waitcnt lgkmcnt(1)
	global_store_dwordx2 v[14:15], v[2:3], off
	global_store_dwordx2 v[14:15], v[4:5], off offset:504
	s_waitcnt lgkmcnt(0)
	global_store_dwordx2 v[14:15], v[6:7], off offset:1008
	global_store_dwordx2 v[14:15], v[8:9], off offset:1512
	v_add_u32_e32 v2, 0x400, v39
	ds_read2_b64 v[2:5], v2 offset0:124 offset1:187
	v_add_u32_e32 v6, 0x800, v39
	ds_read2_b64 v[6:9], v6 offset0:122 offset1:185
	;; [unrolled: 2-line block ×3, first 2 shown]
	s_waitcnt lgkmcnt(2)
	global_store_dwordx2 v[14:15], v[2:3], off offset:2016
	global_store_dwordx2 v[14:15], v[4:5], off offset:2520
	s_waitcnt lgkmcnt(1)
	global_store_dwordx2 v[14:15], v[6:7], off offset:3024
	global_store_dwordx2 v[14:15], v[8:9], off offset:3528
	s_waitcnt lgkmcnt(0)
	global_store_dwordx2 v[14:15], v[10:11], off offset:4032
	v_add_u32_e32 v2, 0x1000, v39
	ds_read2_b64 v[2:5], v2 offset0:118 offset1:181
	v_add_co_u32_e32 v6, vcc, 0x1000, v14
	v_addc_co_u32_e32 v7, vcc, 0, v15, vcc
	v_cmp_eq_u32_e32 vcc, 62, v20
	global_store_dwordx2 v[6:7], v[12:13], off offset:440
	s_waitcnt lgkmcnt(0)
	global_store_dwordx2 v[6:7], v[2:3], off offset:944
	global_store_dwordx2 v[6:7], v[4:5], off offset:1448
	s_and_b64 exec, exec, vcc
	s_cbranch_execz .LBB0_24
; %bb.23:
	v_mov_b32_e32 v2, 0
	ds_read_b64 v[2:3], v2 offset:6048
	v_add_co_u32_e32 v4, vcc, 0x1000, v1
	v_addc_co_u32_e32 v5, vcc, 0, v0, vcc
	s_waitcnt lgkmcnt(0)
	global_store_dwordx2 v[4:5], v[2:3], off offset:1952
.LBB0_24:
	s_endpgm
	.section	.rodata,"a",@progbits
	.p2align	6, 0x0
	.amdhsa_kernel fft_rtc_fwd_len756_factors_2_2_3_3_3_7_wgs_63_tpt_63_sp_ip_CI_unitstride_sbrr_R2C_dirReg
		.amdhsa_group_segment_fixed_size 0
		.amdhsa_private_segment_fixed_size 0
		.amdhsa_kernarg_size 88
		.amdhsa_user_sgpr_count 6
		.amdhsa_user_sgpr_private_segment_buffer 1
		.amdhsa_user_sgpr_dispatch_ptr 0
		.amdhsa_user_sgpr_queue_ptr 0
		.amdhsa_user_sgpr_kernarg_segment_ptr 1
		.amdhsa_user_sgpr_dispatch_id 0
		.amdhsa_user_sgpr_flat_scratch_init 0
		.amdhsa_user_sgpr_private_segment_size 0
		.amdhsa_uses_dynamic_stack 0
		.amdhsa_system_sgpr_private_segment_wavefront_offset 0
		.amdhsa_system_sgpr_workgroup_id_x 1
		.amdhsa_system_sgpr_workgroup_id_y 0
		.amdhsa_system_sgpr_workgroup_id_z 0
		.amdhsa_system_sgpr_workgroup_info 0
		.amdhsa_system_vgpr_workitem_id 0
		.amdhsa_next_free_vgpr 65
		.amdhsa_next_free_sgpr 22
		.amdhsa_reserve_vcc 1
		.amdhsa_reserve_flat_scratch 0
		.amdhsa_float_round_mode_32 0
		.amdhsa_float_round_mode_16_64 0
		.amdhsa_float_denorm_mode_32 3
		.amdhsa_float_denorm_mode_16_64 3
		.amdhsa_dx10_clamp 1
		.amdhsa_ieee_mode 1
		.amdhsa_fp16_overflow 0
		.amdhsa_exception_fp_ieee_invalid_op 0
		.amdhsa_exception_fp_denorm_src 0
		.amdhsa_exception_fp_ieee_div_zero 0
		.amdhsa_exception_fp_ieee_overflow 0
		.amdhsa_exception_fp_ieee_underflow 0
		.amdhsa_exception_fp_ieee_inexact 0
		.amdhsa_exception_int_div_zero 0
	.end_amdhsa_kernel
	.text
.Lfunc_end0:
	.size	fft_rtc_fwd_len756_factors_2_2_3_3_3_7_wgs_63_tpt_63_sp_ip_CI_unitstride_sbrr_R2C_dirReg, .Lfunc_end0-fft_rtc_fwd_len756_factors_2_2_3_3_3_7_wgs_63_tpt_63_sp_ip_CI_unitstride_sbrr_R2C_dirReg
                                        ; -- End function
	.section	.AMDGPU.csdata,"",@progbits
; Kernel info:
; codeLenInByte = 8168
; NumSgprs: 26
; NumVgprs: 65
; ScratchSize: 0
; MemoryBound: 0
; FloatMode: 240
; IeeeMode: 1
; LDSByteSize: 0 bytes/workgroup (compile time only)
; SGPRBlocks: 3
; VGPRBlocks: 16
; NumSGPRsForWavesPerEU: 26
; NumVGPRsForWavesPerEU: 65
; Occupancy: 3
; WaveLimiterHint : 1
; COMPUTE_PGM_RSRC2:SCRATCH_EN: 0
; COMPUTE_PGM_RSRC2:USER_SGPR: 6
; COMPUTE_PGM_RSRC2:TRAP_HANDLER: 0
; COMPUTE_PGM_RSRC2:TGID_X_EN: 1
; COMPUTE_PGM_RSRC2:TGID_Y_EN: 0
; COMPUTE_PGM_RSRC2:TGID_Z_EN: 0
; COMPUTE_PGM_RSRC2:TIDIG_COMP_CNT: 0
	.type	__hip_cuid_fe14cd5ff753a432,@object ; @__hip_cuid_fe14cd5ff753a432
	.section	.bss,"aw",@nobits
	.globl	__hip_cuid_fe14cd5ff753a432
__hip_cuid_fe14cd5ff753a432:
	.byte	0                               ; 0x0
	.size	__hip_cuid_fe14cd5ff753a432, 1

	.ident	"AMD clang version 19.0.0git (https://github.com/RadeonOpenCompute/llvm-project roc-6.4.0 25133 c7fe45cf4b819c5991fe208aaa96edf142730f1d)"
	.section	".note.GNU-stack","",@progbits
	.addrsig
	.addrsig_sym __hip_cuid_fe14cd5ff753a432
	.amdgpu_metadata
---
amdhsa.kernels:
  - .args:
      - .actual_access:  read_only
        .address_space:  global
        .offset:         0
        .size:           8
        .value_kind:     global_buffer
      - .offset:         8
        .size:           8
        .value_kind:     by_value
      - .actual_access:  read_only
        .address_space:  global
        .offset:         16
        .size:           8
        .value_kind:     global_buffer
      - .actual_access:  read_only
        .address_space:  global
        .offset:         24
        .size:           8
        .value_kind:     global_buffer
      - .offset:         32
        .size:           8
        .value_kind:     by_value
      - .actual_access:  read_only
        .address_space:  global
        .offset:         40
        .size:           8
        .value_kind:     global_buffer
      - .actual_access:  read_only
        .address_space:  global
        .offset:         48
        .size:           8
        .value_kind:     global_buffer
      - .offset:         56
        .size:           4
        .value_kind:     by_value
      - .actual_access:  read_only
        .address_space:  global
        .offset:         64
        .size:           8
        .value_kind:     global_buffer
      - .actual_access:  read_only
        .address_space:  global
        .offset:         72
        .size:           8
        .value_kind:     global_buffer
      - .address_space:  global
        .offset:         80
        .size:           8
        .value_kind:     global_buffer
    .group_segment_fixed_size: 0
    .kernarg_segment_align: 8
    .kernarg_segment_size: 88
    .language:       OpenCL C
    .language_version:
      - 2
      - 0
    .max_flat_workgroup_size: 63
    .name:           fft_rtc_fwd_len756_factors_2_2_3_3_3_7_wgs_63_tpt_63_sp_ip_CI_unitstride_sbrr_R2C_dirReg
    .private_segment_fixed_size: 0
    .sgpr_count:     26
    .sgpr_spill_count: 0
    .symbol:         fft_rtc_fwd_len756_factors_2_2_3_3_3_7_wgs_63_tpt_63_sp_ip_CI_unitstride_sbrr_R2C_dirReg.kd
    .uniform_work_group_size: 1
    .uses_dynamic_stack: false
    .vgpr_count:     65
    .vgpr_spill_count: 0
    .wavefront_size: 64
amdhsa.target:   amdgcn-amd-amdhsa--gfx906
amdhsa.version:
  - 1
  - 2
...

	.end_amdgpu_metadata
